;; amdgpu-corpus repo=ROCm/rocFFT kind=compiled arch=gfx950 opt=O3
	.text
	.amdgcn_target "amdgcn-amd-amdhsa--gfx950"
	.amdhsa_code_object_version 6
	.protected	fft_rtc_back_len60_factors_6_10_wgs_60_tpt_10_halfLds_half_ip_CI_unitstride_sbrr_C2R_dirReg ; -- Begin function fft_rtc_back_len60_factors_6_10_wgs_60_tpt_10_halfLds_half_ip_CI_unitstride_sbrr_C2R_dirReg
	.globl	fft_rtc_back_len60_factors_6_10_wgs_60_tpt_10_halfLds_half_ip_CI_unitstride_sbrr_C2R_dirReg
	.p2align	8
	.type	fft_rtc_back_len60_factors_6_10_wgs_60_tpt_10_halfLds_half_ip_CI_unitstride_sbrr_C2R_dirReg,@function
fft_rtc_back_len60_factors_6_10_wgs_60_tpt_10_halfLds_half_ip_CI_unitstride_sbrr_C2R_dirReg: ; @fft_rtc_back_len60_factors_6_10_wgs_60_tpt_10_halfLds_half_ip_CI_unitstride_sbrr_C2R_dirReg
; %bb.0:
	s_load_dwordx2 s[8:9], s[0:1], 0x50
	s_load_dwordx4 s[4:7], s[0:1], 0x0
	s_load_dwordx2 s[10:11], s[0:1], 0x18
	v_mul_u32_u24_e32 v1, 0x199a, v0
	v_lshrrev_b32_e32 v2, 16, v1
	v_mad_u64_u32 v[2:3], s[2:3], s2, 6, v[2:3]
	v_mov_b32_e32 v6, 0
	v_mov_b32_e32 v3, v6
	s_waitcnt lgkmcnt(0)
	v_cmp_lt_u64_e64 s[2:3], s[6:7], 2
	s_and_b64 vcc, exec, s[2:3]
	v_mov_b64_e32 v[4:5], 0
	v_mov_b64_e32 v[10:11], v[2:3]
	s_cbranch_vccnz .LBB0_8
; %bb.1:
	s_load_dwordx2 s[2:3], s[0:1], 0x10
	s_add_u32 s12, s10, 8
	s_addc_u32 s13, s11, 0
	s_mov_b64 s[14:15], 1
	v_mov_b64_e32 v[4:5], 0
	s_waitcnt lgkmcnt(0)
	s_add_u32 s16, s2, 8
	s_addc_u32 s17, s3, 0
	v_mov_b64_e32 v[8:9], v[2:3]
.LBB0_2:                                ; =>This Inner Loop Header: Depth=1
	s_load_dwordx2 s[18:19], s[16:17], 0x0
                                        ; implicit-def: $vgpr10_vgpr11
	s_waitcnt lgkmcnt(0)
	v_or_b32_e32 v7, s19, v9
	v_cmp_ne_u64_e32 vcc, 0, v[6:7]
	s_and_saveexec_b64 s[2:3], vcc
	s_xor_b64 s[20:21], exec, s[2:3]
	s_cbranch_execz .LBB0_4
; %bb.3:                                ;   in Loop: Header=BB0_2 Depth=1
	v_cvt_f32_u32_e32 v1, s18
	v_cvt_f32_u32_e32 v3, s19
	s_sub_u32 s2, 0, s18
	s_subb_u32 s3, 0, s19
	v_fmac_f32_e32 v1, 0x4f800000, v3
	v_rcp_f32_e32 v1, v1
	s_nop 0
	v_mul_f32_e32 v1, 0x5f7ffffc, v1
	v_mul_f32_e32 v3, 0x2f800000, v1
	v_trunc_f32_e32 v3, v3
	v_fmac_f32_e32 v1, 0xcf800000, v3
	v_cvt_u32_f32_e32 v3, v3
	v_cvt_u32_f32_e32 v1, v1
	v_mul_lo_u32 v7, s2, v3
	v_mul_hi_u32 v10, s2, v1
	v_mul_lo_u32 v11, s3, v1
	v_add_u32_e32 v7, v10, v7
	v_mul_lo_u32 v14, s2, v1
	v_add_u32_e32 v7, v7, v11
	v_mul_hi_u32 v10, v1, v14
	v_mul_hi_u32 v13, v1, v7
	v_mul_lo_u32 v12, v1, v7
	v_mov_b32_e32 v11, v6
	v_lshl_add_u64 v[10:11], v[10:11], 0, v[12:13]
	v_mul_hi_u32 v13, v3, v14
	v_mul_lo_u32 v14, v3, v14
	v_add_co_u32_e32 v10, vcc, v10, v14
	v_mul_hi_u32 v12, v3, v7
	s_nop 0
	v_addc_co_u32_e32 v10, vcc, v11, v13, vcc
	v_mov_b32_e32 v11, v6
	s_nop 0
	v_addc_co_u32_e32 v13, vcc, 0, v12, vcc
	v_mul_lo_u32 v12, v3, v7
	v_lshl_add_u64 v[10:11], v[10:11], 0, v[12:13]
	v_add_co_u32_e32 v1, vcc, v1, v10
	v_mul_hi_u32 v10, s2, v1
	s_nop 0
	v_addc_co_u32_e32 v3, vcc, v3, v11, vcc
	v_mul_lo_u32 v7, s2, v3
	v_add_u32_e32 v7, v10, v7
	v_mul_lo_u32 v10, s3, v1
	v_add_u32_e32 v7, v7, v10
	v_mul_lo_u32 v12, s2, v1
	v_mul_hi_u32 v15, v3, v12
	v_mul_lo_u32 v16, v3, v12
	v_mul_hi_u32 v11, v1, v7
	;; [unrolled: 2-line block ×3, first 2 shown]
	v_mov_b32_e32 v13, v6
	v_lshl_add_u64 v[10:11], v[12:13], 0, v[10:11]
	v_add_co_u32_e32 v10, vcc, v10, v16
	v_mul_hi_u32 v14, v3, v7
	s_nop 0
	v_addc_co_u32_e32 v10, vcc, v11, v15, vcc
	v_mul_lo_u32 v12, v3, v7
	s_nop 0
	v_addc_co_u32_e32 v13, vcc, 0, v14, vcc
	v_mov_b32_e32 v11, v6
	v_lshl_add_u64 v[10:11], v[10:11], 0, v[12:13]
	v_add_co_u32_e32 v1, vcc, v1, v10
	v_mul_hi_u32 v12, v8, v1
	s_nop 0
	v_addc_co_u32_e32 v3, vcc, v3, v11, vcc
	v_mad_u64_u32 v[10:11], s[2:3], v8, v3, 0
	v_mov_b32_e32 v13, v6
	v_lshl_add_u64 v[10:11], v[12:13], 0, v[10:11]
	v_mad_u64_u32 v[14:15], s[2:3], v9, v1, 0
	v_add_co_u32_e32 v1, vcc, v10, v14
	v_mad_u64_u32 v[12:13], s[2:3], v9, v3, 0
	s_nop 0
	v_addc_co_u32_e32 v10, vcc, v11, v15, vcc
	v_mov_b32_e32 v11, v6
	s_nop 0
	v_addc_co_u32_e32 v13, vcc, 0, v13, vcc
	v_lshl_add_u64 v[10:11], v[10:11], 0, v[12:13]
	v_mul_lo_u32 v1, s19, v10
	v_mul_lo_u32 v3, s18, v11
	v_mad_u64_u32 v[12:13], s[2:3], s18, v10, 0
	v_add3_u32 v1, v13, v3, v1
	v_sub_u32_e32 v3, v9, v1
	v_mov_b32_e32 v7, s19
	v_sub_co_u32_e32 v16, vcc, v8, v12
	v_lshl_add_u64 v[14:15], v[10:11], 0, 1
	s_nop 0
	v_subb_co_u32_e64 v3, s[2:3], v3, v7, vcc
	v_subrev_co_u32_e64 v7, s[2:3], s18, v16
	v_subb_co_u32_e32 v1, vcc, v9, v1, vcc
	s_nop 0
	v_subbrev_co_u32_e64 v3, s[2:3], 0, v3, s[2:3]
	v_cmp_le_u32_e64 s[2:3], s19, v3
	v_cmp_le_u32_e32 vcc, s19, v1
	s_nop 0
	v_cndmask_b32_e64 v12, 0, -1, s[2:3]
	v_cmp_le_u32_e64 s[2:3], s18, v7
	s_nop 1
	v_cndmask_b32_e64 v7, 0, -1, s[2:3]
	v_cmp_eq_u32_e64 s[2:3], s19, v3
	s_nop 1
	v_cndmask_b32_e64 v3, v12, v7, s[2:3]
	v_lshl_add_u64 v[12:13], v[10:11], 0, 2
	v_cmp_ne_u32_e64 s[2:3], 0, v3
	v_cndmask_b32_e64 v7, 0, -1, vcc
	v_cmp_le_u32_e32 vcc, s18, v16
	v_cndmask_b32_e64 v3, v15, v13, s[2:3]
	s_nop 0
	v_cndmask_b32_e64 v13, 0, -1, vcc
	v_cmp_eq_u32_e32 vcc, s19, v1
	s_nop 1
	v_cndmask_b32_e32 v1, v7, v13, vcc
	v_cmp_ne_u32_e32 vcc, 0, v1
	v_cndmask_b32_e64 v1, v14, v12, s[2:3]
	s_nop 0
	v_cndmask_b32_e32 v11, v11, v3, vcc
	v_cndmask_b32_e32 v10, v10, v1, vcc
.LBB0_4:                                ;   in Loop: Header=BB0_2 Depth=1
	s_andn2_saveexec_b64 s[2:3], s[20:21]
	s_cbranch_execz .LBB0_6
; %bb.5:                                ;   in Loop: Header=BB0_2 Depth=1
	v_cvt_f32_u32_e32 v1, s18
	s_sub_i32 s20, 0, s18
	v_mov_b32_e32 v11, v6
	v_rcp_iflag_f32_e32 v1, v1
	s_nop 0
	v_mul_f32_e32 v1, 0x4f7ffffe, v1
	v_cvt_u32_f32_e32 v1, v1
	v_mul_lo_u32 v3, s20, v1
	v_mul_hi_u32 v3, v1, v3
	v_add_u32_e32 v1, v1, v3
	v_mul_hi_u32 v1, v8, v1
	v_mul_lo_u32 v3, v1, s18
	v_sub_u32_e32 v3, v8, v3
	v_add_u32_e32 v7, 1, v1
	v_subrev_u32_e32 v10, s18, v3
	v_cmp_le_u32_e32 vcc, s18, v3
	s_nop 1
	v_cndmask_b32_e32 v3, v3, v10, vcc
	v_cndmask_b32_e32 v1, v1, v7, vcc
	v_add_u32_e32 v7, 1, v1
	v_cmp_le_u32_e32 vcc, s18, v3
	s_nop 1
	v_cndmask_b32_e32 v10, v1, v7, vcc
.LBB0_6:                                ;   in Loop: Header=BB0_2 Depth=1
	s_or_b64 exec, exec, s[2:3]
	v_mad_u64_u32 v[12:13], s[2:3], v10, s18, 0
	s_load_dwordx2 s[2:3], s[12:13], 0x0
	s_add_u32 s14, s14, 1
	v_mul_lo_u32 v1, v11, s18
	v_mul_lo_u32 v3, v10, s19
	s_addc_u32 s15, s15, 0
	v_add3_u32 v1, v13, v3, v1
	v_sub_co_u32_e32 v3, vcc, v8, v12
	s_add_u32 s12, s12, 8
	s_nop 0
	v_subb_co_u32_e32 v1, vcc, v9, v1, vcc
	s_addc_u32 s13, s13, 0
	v_mov_b64_e32 v[8:9], s[6:7]
	s_waitcnt lgkmcnt(0)
	v_mul_lo_u32 v1, s2, v1
	v_mul_lo_u32 v7, s3, v3
	v_mad_u64_u32 v[4:5], s[2:3], s2, v3, v[4:5]
	s_add_u32 s16, s16, 8
	v_cmp_ge_u64_e32 vcc, s[14:15], v[8:9]
	v_add3_u32 v5, v7, v5, v1
	s_addc_u32 s17, s17, 0
	s_cbranch_vccnz .LBB0_8
; %bb.7:                                ;   in Loop: Header=BB0_2 Depth=1
	v_mov_b64_e32 v[8:9], v[10:11]
	s_branch .LBB0_2
.LBB0_8:
	s_lshl_b64 s[2:3], s[6:7], 3
	s_add_u32 s2, s10, s2
	s_addc_u32 s3, s11, s3
	s_load_dwordx2 s[6:7], s[2:3], 0x0
	s_load_dwordx2 s[10:11], s[0:1], 0x20
	s_waitcnt lgkmcnt(0)
	v_mad_u64_u32 v[6:7], s[0:1], s6, v10, v[4:5]
	v_mul_lo_u32 v1, s6, v11
	v_mul_lo_u32 v3, s7, v10
	s_mov_b32 s0, 0xaaaaaaab
	v_add3_u32 v7, v3, v7, v1
	v_mul_hi_u32 v1, v2, s0
	v_lshrrev_b32_e32 v1, 2, v1
	v_mul_lo_u32 v1, v1, 6
	v_sub_u32_e32 v1, v2, v1
	s_mov_b32 s0, 0x1999999a
	v_mul_u32_u24_e32 v4, 61, v1
	v_mul_hi_u32 v1, v0, s0
	v_mul_u32_u24_e32 v1, 10, v1
	v_cmp_gt_u64_e32 vcc, s[10:11], v[10:11]
	v_sub_u32_e32 v2, v0, v1
	v_lshl_add_u64 v[0:1], v[6:7], 2, s[8:9]
	v_lshlrev_b32_e32 v7, 2, v4
	s_and_saveexec_b64 s[2:3], vcc
	s_cbranch_execz .LBB0_12
; %bb.9:
	v_mov_b32_e32 v3, 0
	v_lshl_add_u64 v[8:9], v[2:3], 2, v[0:1]
	global_load_dword v5, v[8:9], off
	global_load_dword v6, v[8:9], off offset:40
	global_load_dword v10, v[8:9], off offset:80
	;; [unrolled: 1-line block ×5, first 2 shown]
	v_lshlrev_b32_e32 v3, 2, v2
	v_add3_u32 v3, 0, v7, v3
	v_cmp_eq_u32_e64 s[0:1], 9, v2
	s_waitcnt vmcnt(4)
	ds_write2_b32 v3, v5, v6 offset1:10
	s_waitcnt vmcnt(2)
	ds_write2_b32 v3, v10, v11 offset0:20 offset1:30
	s_waitcnt vmcnt(0)
	ds_write2_b32 v3, v12, v13 offset0:40 offset1:50
	s_and_saveexec_b64 s[6:7], s[0:1]
	s_cbranch_execz .LBB0_11
; %bb.10:
	global_load_dword v2, v[0:1], off offset:240
	s_waitcnt vmcnt(0)
	ds_write_b32 v3, v2 offset:204
	v_mov_b32_e32 v2, 9
.LBB0_11:
	s_or_b64 exec, exec, s[6:7]
.LBB0_12:
	s_or_b64 exec, exec, s[2:3]
	v_lshl_add_u32 v12, v4, 2, 0
	v_lshlrev_b32_e32 v8, 2, v2
	v_add_u32_e32 v13, v12, v8
	s_waitcnt lgkmcnt(0)
	; wave barrier
	s_waitcnt lgkmcnt(0)
	v_sub_u32_e32 v6, v12, v8
	ds_read_u16 v11, v13
	ds_read_u16 v14, v6 offset:240
	v_cmp_ne_u32_e64 s[0:1], 0, v2
                                        ; implicit-def: $vgpr4_vgpr5
	s_waitcnt lgkmcnt(0)
	v_add_f16_e32 v9, v14, v11
	v_sub_f16_e32 v10, v11, v14
	s_and_saveexec_b64 s[2:3], s[0:1]
	s_xor_b64 s[0:1], exec, s[2:3]
	s_cbranch_execz .LBB0_14
; %bb.13:
	v_mov_b32_e32 v3, 0
	v_lshl_add_u64 v[4:5], v[2:3], 2, s[4:5]
	global_load_dword v4, v[4:5], off offset:216
	ds_read_u16 v5, v6 offset:242
	ds_read_u16 v9, v13 offset:2
	v_add_f16_e32 v10, v14, v11
	v_sub_f16_e32 v11, v11, v14
	s_waitcnt lgkmcnt(0)
	v_add_f16_e32 v14, v5, v9
	v_sub_f16_e32 v5, v9, v5
	s_waitcnt vmcnt(0)
	v_lshrrev_b32_e32 v9, 16, v4
	v_fma_f16 v15, v11, v9, v10
	v_fma_f16 v16, v14, v9, v5
	v_fma_f16 v17, -v11, v9, v10
	v_fma_f16 v5, v14, v9, -v5
	v_fma_f16 v9, -v4, v14, v15
	v_fma_f16 v10, v11, v4, v16
	v_fma_f16 v14, v4, v14, v17
	;; [unrolled: 1-line block ×3, first 2 shown]
	v_pack_b32_f16 v4, v14, v4
	ds_write_b32 v6, v4 offset:240
	v_mov_b64_e32 v[4:5], v[2:3]
.LBB0_14:
	s_andn2_saveexec_b64 s[0:1], s[0:1]
	s_cbranch_execz .LBB0_16
; %bb.15:
	ds_read_b32 v3, v12 offset:120
	s_mov_b32 s2, 0xc0004000
	v_mov_b64_e32 v[4:5], 0
	s_waitcnt lgkmcnt(0)
	v_pk_mul_f16 v3, v3, s2
	ds_write_b32 v12, v3 offset:120
.LBB0_16:
	s_or_b64 exec, exec, s[0:1]
	s_add_u32 s0, s4, 0xd8
	s_addc_u32 s1, s5, 0
	v_lshl_add_u64 v[4:5], v[4:5], 2, s[0:1]
	global_load_dword v11, v[4:5], off offset:40
	global_load_dword v14, v[4:5], off offset:80
	s_mov_b32 s0, 0x5040100
	v_perm_b32 v3, v10, v9, s0
	ds_write_b32 v13, v3
	ds_read_b32 v4, v13 offset:40
	ds_read_b32 v5, v6 offset:200
	v_add3_u32 v3, 0, v8, v7
	s_mov_b32 s0, 0xbaee
	s_movk_i32 s1, 0x3aee
	s_mov_b32 s3, 0xb800baee
	s_waitcnt lgkmcnt(0)
	v_add_f16_e32 v7, v4, v5
	v_add_f16_sdwa v8, v5, v4 dst_sel:DWORD dst_unused:UNUSED_PAD src0_sel:WORD_1 src1_sel:WORD_1
	v_sub_f16_e32 v9, v4, v5
	v_sub_f16_sdwa v4, v4, v5 dst_sel:DWORD dst_unused:UNUSED_PAD src0_sel:WORD_1 src1_sel:WORD_1
	s_mov_b32 s6, 0xffff
	s_mov_b32 s2, 0x3aeeb800
	s_waitcnt vmcnt(1)
	v_lshrrev_b32_e32 v5, 16, v11
	v_fma_f16 v10, v9, v5, v7
	v_fma_f16 v15, v8, v5, v4
	v_fma_f16 v7, -v9, v5, v7
	v_fma_f16 v4, v8, v5, -v4
	v_fma_f16 v5, -v11, v8, v10
	v_fma_f16 v10, v9, v11, v15
	v_fma_f16 v7, v11, v8, v7
	;; [unrolled: 1-line block ×3, first 2 shown]
	v_pack_b32_f16 v5, v5, v10
	v_pack_b32_f16 v4, v7, v4
	ds_write_b32 v13, v5 offset:40
	ds_write_b32 v6, v4 offset:200
	ds_read_b32 v4, v13 offset:80
	ds_read_b32 v5, v6 offset:160
	s_waitcnt vmcnt(0)
	v_lshrrev_b32_e32 v7, 16, v14
	s_waitcnt lgkmcnt(0)
	v_add_f16_e32 v8, v4, v5
	v_add_f16_sdwa v9, v5, v4 dst_sel:DWORD dst_unused:UNUSED_PAD src0_sel:WORD_1 src1_sel:WORD_1
	v_sub_f16_e32 v10, v4, v5
	v_sub_f16_sdwa v4, v4, v5 dst_sel:DWORD dst_unused:UNUSED_PAD src0_sel:WORD_1 src1_sel:WORD_1
	v_fma_f16 v5, v10, v7, v8
	v_fma_f16 v11, v9, v7, v4
	v_fma_f16 v8, -v10, v7, v8
	v_fma_f16 v4, v9, v7, -v4
	v_fma_f16 v5, -v14, v9, v5
	v_fma_f16 v7, v10, v14, v11
	v_fma_f16 v8, v14, v9, v8
	v_fma_f16 v4, v10, v14, v4
	v_pack_b32_f16 v5, v5, v7
	v_pack_b32_f16 v4, v8, v4
	ds_write_b32 v13, v5 offset:80
	ds_write_b32 v6, v4 offset:160
	s_waitcnt lgkmcnt(0)
	; wave barrier
	s_waitcnt lgkmcnt(0)
	s_waitcnt lgkmcnt(0)
	; wave barrier
	s_waitcnt lgkmcnt(0)
	ds_read2_b32 v[4:5], v3 offset0:10 offset1:20
	ds_read2_b32 v[6:7], v3 offset0:30 offset1:40
	ds_read_b32 v8, v13
	ds_read_b32 v9, v3 offset:200
	v_mad_u32_u24 v10, v2, 20, v3
	s_waitcnt lgkmcnt(3)
	v_lshrrev_b32_e32 v18, 16, v4
	s_waitcnt lgkmcnt(2)
	v_pk_add_f16 v16, v4, v6
	s_waitcnt lgkmcnt(1)
	v_pk_add_f16 v11, v8, v5
	s_waitcnt lgkmcnt(0)
	v_add_f16_sdwa v17, v6, v9 dst_sel:DWORD dst_unused:UNUSED_PAD src0_sel:WORD_1 src1_sel:WORD_1
	v_add_f16_e32 v14, v6, v9
	v_sub_f16_sdwa v15, v6, v9 dst_sel:DWORD dst_unused:UNUSED_PAD src0_sel:WORD_1 src1_sel:WORD_1
	v_sub_f16_e32 v6, v6, v9
	v_pk_add_f16 v19, v5, v7
	v_pk_add_f16 v5, v5, v7 neg_lo:[0,1] neg_hi:[0,1]
	v_pk_add_f16 v7, v11, v7
	v_fma_f16 v11, v17, -0.5, v18
	v_fma_f16 v4, v14, -0.5, v4
	v_pk_fma_f16 v8, v19, -0.5, v8 op_sel_hi:[1,0,1]
	v_pk_mul_f16 v5, v5, s1 op_sel_hi:[1,0]
	v_fma_f16 v17, v6, s1, v11
	v_fma_f16 v6, v6, s0, v11
	v_pk_add_f16 v9, v16, v9
	v_fma_f16 v16, v15, s0, v4
	v_fma_f16 v15, v15, s1, v4
	v_pk_add_f16 v11, v8, v5 op_sel:[0,1] op_sel_hi:[1,0] neg_lo:[0,1] neg_hi:[0,1]
	v_pk_add_f16 v8, v5, v8 op_sel:[1,0] op_sel_hi:[0,1]
	v_mul_f16_e32 v5, 0xbaee, v17
	v_mul_f16_e32 v17, 0.5, v17
	v_pk_mul_f16 v6, v6, s3 op_sel_hi:[0,1]
	v_bfi_b32 v18, s6, v8, v11
	v_fma_f16 v19, v16, 0.5, v5
	v_fma_f16 v16, v16, s1, v17
	v_pk_fma_f16 v6, v15, s2, v6 op_sel_hi:[0,1,1]
	v_pk_add_f16 v14, v7, v9
	v_pk_add_f16 v4, v7, v9 neg_lo:[0,1] neg_hi:[0,1]
	v_alignbit_b32 v7, v11, v7, 16
	v_add_f16_e32 v11, v11, v19
	v_add_f16_sdwa v15, v8, v16 dst_sel:DWORD dst_unused:UNUSED_PAD src0_sel:WORD_1 src1_sel:DWORD
	v_pk_add_f16 v5, v18, v6
	v_alignbit_b32 v9, v19, v9, 16
	v_pack_b32_f16 v16, v16, v6
	v_pk_add_f16 v17, v18, v6 neg_lo:[0,1] neg_hi:[0,1]
	s_waitcnt lgkmcnt(0)
	; wave barrier
	ds_write_b16 v10, v4 offset:12
	v_pk_add_f16 v6, v7, v9 neg_lo:[0,1] neg_hi:[0,1]
	v_pk_add_f16 v7, v8, v16 op_sel:[1,0] op_sel_hi:[0,1] neg_lo:[0,1] neg_hi:[0,1]
	v_lshrrev_b32_e32 v8, 16, v17
	v_pack_b32_f16 v9, v11, v15
	ds_write_b32 v10, v5 offset:8
	ds_write2_b32 v10, v14, v9 offset1:1
	ds_write_b64 v10, v[6:7] offset:14
	ds_write_b16 v10, v8 offset:22
	v_cmp_gt_u32_e64 s[0:1], 6, v2
	v_bfi_b32 v10, s6, v11, v17
	s_waitcnt lgkmcnt(0)
	; wave barrier
	s_waitcnt lgkmcnt(0)
                                        ; implicit-def: $vgpr17
                                        ; implicit-def: $vgpr16
                                        ; implicit-def: $vgpr18
                                        ; implicit-def: $vgpr9
                                        ; implicit-def: $vgpr11
                                        ; implicit-def: $vgpr19
	s_and_saveexec_b64 s[2:3], s[0:1]
	s_cbranch_execz .LBB0_18
; %bb.17:
	ds_read2_b32 v[8:9], v3 offset0:42 offset1:48
	ds_read_b32 v14, v13
	ds_read_b32 v16, v3 offset:216
	ds_read2_b32 v[4:5], v3 offset0:6 offset1:12
	ds_read2_b32 v[20:21], v3 offset0:18 offset1:24
	ds_read2_b32 v[10:11], v3 offset0:30 offset1:36
	s_waitcnt lgkmcnt(5)
	v_lshrrev_b32_e32 v18, 16, v9
	s_waitcnt lgkmcnt(3)
	v_lshrrev_b32_e32 v17, 16, v16
	;; [unrolled: 2-line block ×3, first 2 shown]
	s_waitcnt lgkmcnt(1)
	v_alignbit_b32 v6, v21, v20, 16
	s_waitcnt lgkmcnt(0)
	v_alignbit_b32 v7, v10, v21, 16
	v_bfi_b32 v10, s6, v4, v10
	v_bfi_b32 v19, s6, v8, v11
	v_bfi_b32 v4, s6, v20, v8
.LBB0_18:
	s_or_b64 exec, exec, s[2:3]
	s_waitcnt lgkmcnt(0)
	; wave barrier
	s_waitcnt lgkmcnt(0)
	s_and_saveexec_b64 s[2:3], s[0:1]
	s_cbranch_execz .LBB0_20
; %bb.19:
	v_add_u32_e32 v8, -6, v2
	v_cndmask_b32_e64 v8, v8, v2, s[0:1]
	v_mul_i32_i24_e32 v20, 9, v8
	v_mov_b32_e32 v21, 0
	v_lshl_add_u64 v[28:29], v[20:21], 2, s[4:5]
	global_load_dwordx4 v[20:23], v[28:29], off
	global_load_dwordx4 v[24:27], v[28:29], off offset:16
	global_load_dword v8, v[28:29], off offset:32
	v_lshrrev_b32_e32 v29, 16, v6
	v_lshrrev_b32_e32 v28, 16, v5
	;; [unrolled: 1-line block ×7, first 2 shown]
	s_mov_b32 s0, 0xbb9c
	s_movk_i32 s5, 0x3b9c
	s_mov_b32 s1, 0xb8b4
	s_movk_i32 s6, 0x38b4
	s_movk_i32 s4, 0x34f2
	s_movk_i32 s9, 0x3a79
	s_mov_b32 s7, 0xba79
	s_mov_b32 s8, 0xb4f2
	s_waitcnt vmcnt(2)
	v_mul_f16_sdwa v35, v5, v21 dst_sel:DWORD dst_unused:UNUSED_PAD src0_sel:DWORD src1_sel:WORD_1
	v_mul_f16_sdwa v36, v29, v23 dst_sel:DWORD dst_unused:UNUSED_PAD src0_sel:DWORD src1_sel:WORD_1
	s_waitcnt vmcnt(1)
	v_mul_f16_sdwa v37, v9, v27 dst_sel:DWORD dst_unused:UNUSED_PAD src0_sel:DWORD src1_sel:WORD_1
	v_mul_f16_sdwa v38, v11, v25 dst_sel:DWORD dst_unused:UNUSED_PAD src0_sel:DWORD src1_sel:WORD_1
	;; [unrolled: 1-line block ×8, first 2 shown]
	s_waitcnt vmcnt(0)
	v_mul_f16_sdwa v45, v17, v8 dst_sel:DWORD dst_unused:UNUSED_PAD src0_sel:DWORD src1_sel:WORD_1
	v_mul_f16_sdwa v46, v34, v26 dst_sel:DWORD dst_unused:UNUSED_PAD src0_sel:DWORD src1_sel:WORD_1
	;; [unrolled: 1-line block ×8, first 2 shown]
	v_fma_f16 v28, v28, v21, -v35
	v_fma_f16 v7, v7, v23, -v36
	;; [unrolled: 1-line block ×4, first 2 shown]
	v_fma_f16 v5, v5, v21, v39
	v_fma_f16 v9, v9, v27, v40
	v_fma_f16 v21, v29, v23, v41
	v_fma_f16 v11, v11, v25, v42
	v_fma_f16 v4, v4, v22, v43
	v_fma_f16 v23, v32, v24, v44
	v_fma_f16 v16, v16, v8, v45
	v_fma_f16 v19, v19, v26, v46
	v_fma_f16 v10, v10, v20, v47
	v_fma_f16 v6, v6, v22, -v48
	v_fma_f16 v8, v17, v8, -v49
	;; [unrolled: 1-line block ×5, first 2 shown]
	v_sub_f16_e32 v20, v28, v7
	v_sub_f16_e32 v24, v18, v30
	v_add_f16_e32 v25, v7, v30
	v_sub_f16_e32 v26, v5, v9
	v_sub_f16_e32 v29, v4, v23
	;; [unrolled: 1-line block ×5, first 2 shown]
	v_add_f16_e32 v20, v20, v24
	v_fma_f16 v24, v25, -0.5, v31
	v_sub_f16_e32 v27, v21, v11
	v_add_f16_e32 v33, v23, v19
	v_add_f16_e32 v25, v29, v32
	;; [unrolled: 1-line block ×3, first 2 shown]
	v_fma_f16 v37, v26, s0, v24
	v_fma_f16 v24, v26, s5, v24
	v_sub_f16_e32 v34, v6, v8
	v_add_f16_e32 v38, v17, v22
	v_fma_f16 v29, v33, -0.5, v10
	v_fma_f16 v37, v27, s1, v37
	v_fma_f16 v24, v27, s6, v24
	v_sub_f16_e32 v35, v17, v22
	v_add_f16_e32 v43, v28, v18
	v_fma_f16 v33, v38, -0.5, v15
	v_fma_f16 v38, v34, s5, v29
	v_fma_f16 v37, v20, s4, v37
	;; [unrolled: 1-line block ×4, first 2 shown]
	v_sub_f16_e32 v39, v4, v16
	v_sub_f16_e32 v41, v7, v28
	;; [unrolled: 1-line block ×3, first 2 shown]
	v_fma_f16 v38, v35, s6, v38
	v_fma_f16 v43, v43, -0.5, v31
	v_sub_f16_e32 v46, v23, v4
	v_sub_f16_e32 v47, v19, v16
	v_fma_f16 v24, v35, s1, v24
	v_sub_f16_e32 v40, v23, v19
	v_add_f16_e32 v36, v41, v42
	v_fma_f16 v41, v39, s0, v33
	v_fma_f16 v38, v25, s4, v38
	;; [unrolled: 1-line block ×3, first 2 shown]
	v_add_f16_e32 v46, v46, v47
	v_add_f16_e32 v47, v4, v16
	v_sub_f16_e32 v49, v17, v6
	v_sub_f16_e32 v50, v22, v8
	v_fma_f16 v43, v27, s0, v43
	v_fma_f16 v24, v25, s4, v24
	;; [unrolled: 1-line block ×5, first 2 shown]
	v_fma_f16 v47, v47, -0.5, v10
	v_add_f16_e32 v49, v49, v50
	v_add_f16_e32 v50, v6, v8
	v_fma_f16 v43, v26, s6, v43
	v_fma_f16 v25, v40, s6, v25
	v_add_f16_e32 v29, v31, v28
	v_add_f16_e32 v6, v15, v6
	v_fma_f16 v41, v32, s4, v41
	v_fma_f16 v45, v36, s4, v45
	;; [unrolled: 1-line block ×3, first 2 shown]
	v_fma_f16 v50, v50, -0.5, v15
	v_fma_f16 v36, v36, s4, v43
	v_fma_f16 v43, v35, s5, v47
	;; [unrolled: 1-line block ×3, first 2 shown]
	v_add_f16_e32 v29, v29, v7
	v_add_f16_e32 v6, v6, v17
	v_sub_f16_e32 v15, v5, v21
	v_sub_f16_e32 v17, v9, v11
	;; [unrolled: 1-line block ×4, first 2 shown]
	v_fma_f16 v48, v34, s6, v48
	v_fma_f16 v43, v34, s1, v43
	v_add_f16_e32 v29, v29, v30
	v_add_f16_e32 v15, v15, v17
	;; [unrolled: 1-line block ×5, first 2 shown]
	v_fma_f16 v48, v46, s4, v48
	v_fma_f16 v43, v46, s4, v43
	;; [unrolled: 1-line block ×3, first 2 shown]
	v_add_f16_e32 v29, v29, v18
	v_fma_f16 v17, v17, -0.5, v14
	v_sub_f16_e32 v18, v28, v18
	v_sub_f16_e32 v7, v7, v30
	v_fma_f16 v32, v32, -0.5, v14
	v_add_f16_e32 v5, v14, v5
	v_add_f16_e32 v4, v10, v4
	v_fma_f16 v51, v40, s5, v50
	v_fma_f16 v46, v39, s6, v46
	v_add_f16_e32 v6, v6, v22
	v_fma_f16 v22, v18, s5, v17
	v_fma_f16 v33, v7, s0, v32
	;; [unrolled: 1-line block ×4, first 2 shown]
	v_add_f16_e32 v5, v5, v21
	v_add_f16_e32 v4, v4, v23
	v_fma_f16 v51, v39, s1, v51
	v_fma_f16 v46, v49, s4, v46
	;; [unrolled: 1-line block ×6, first 2 shown]
	v_add_f16_e32 v5, v5, v11
	v_add_f16_e32 v4, v4, v19
	v_fma_f16 v51, v49, s4, v51
	v_mul_f16_e32 v47, 0x34f2, v46
	v_mul_f16_e32 v26, 0x3a79, v25
	v_add_f16_e32 v6, v6, v8
	v_fma_f16 v22, v15, s4, v22
	v_fma_f16 v33, v31, s4, v33
	;; [unrolled: 1-line block ×3, first 2 shown]
	v_mul_f16_e32 v32, 0xbb9c, v46
	v_fma_f16 v7, v15, s4, v7
	v_mul_f16_e32 v15, 0xb8b4, v25
	v_add_f16_e32 v5, v5, v9
	v_add_f16_e32 v4, v4, v16
	v_mul_f16_e32 v42, 0xba79, v41
	v_mul_f16_e32 v52, 0xb4f2, v51
	v_fma_f16 v47, v43, s5, v47
	v_fma_f16 v26, v24, s6, v26
	v_sub_f16_e32 v8, v29, v6
	v_mul_f16_e32 v28, 0xb8b4, v41
	v_mul_f16_e32 v34, 0xbb9c, v51
	v_fma_f16 v32, v43, s4, v32
	v_fma_f16 v15, v24, s9, v15
	v_sub_f16_e32 v9, v5, v4
	v_add_f16_e32 v6, v29, v6
	v_add_f16_e32 v4, v5, v4
	v_fma_f16 v42, v38, s6, v42
	v_fma_f16 v52, v48, s5, v52
	v_sub_f16_e32 v27, v20, v26
	v_fma_f16 v28, v38, s7, v28
	v_fma_f16 v34, v48, s8, v34
	v_sub_f16_e32 v17, v7, v15
	v_add_f16_e32 v14, v36, v47
	v_add_f16_e32 v16, v20, v26
	v_add_f16_e32 v20, v31, v32
	v_add_f16_e32 v7, v7, v15
	v_pack_b32_f16 v4, v4, v6
	v_add_f16_e32 v10, v37, v42
	v_add_f16_e32 v11, v45, v52
	;; [unrolled: 1-line block ×4, first 2 shown]
	ds_write_b32 v13, v4
	v_pack_b32_f16 v4, v7, v16
	v_pack_b32_f16 v5, v20, v14
	ds_write2_b32 v3, v4, v5 offset0:6 offset1:12
	v_pack_b32_f16 v4, v19, v11
	v_pack_b32_f16 v5, v18, v10
	v_sub_f16_e32 v53, v45, v52
	v_sub_f16_e32 v49, v36, v47
	;; [unrolled: 1-line block ×4, first 2 shown]
	ds_write2_b32 v3, v4, v5 offset0:18 offset1:24
	v_pack_b32_f16 v4, v9, v8
	v_pack_b32_f16 v5, v17, v27
	v_sub_f16_e32 v44, v37, v42
	v_sub_f16_e32 v30, v22, v28
	ds_write2_b32 v3, v4, v5 offset0:30 offset1:36
	v_pack_b32_f16 v4, v38, v49
	v_pack_b32_f16 v5, v35, v53
	ds_write2_b32 v3, v4, v5 offset0:42 offset1:48
	v_pack_b32_f16 v4, v30, v44
	ds_write_b32 v3, v4 offset:216
.LBB0_20:
	s_or_b64 exec, exec, s[2:3]
	s_waitcnt lgkmcnt(0)
	; wave barrier
	s_waitcnt lgkmcnt(0)
	s_and_saveexec_b64 s[0:1], vcc
	s_cbranch_execz .LBB0_22
; %bb.21:
	v_lshl_add_u32 v10, v2, 2, v12
	ds_read2_b32 v[4:5], v10 offset1:10
	v_mov_b32_e32 v3, 0
	v_lshl_add_u64 v[8:9], v[2:3], 2, v[0:1]
	v_add_u32_e32 v6, 10, v2
	v_mov_b32_e32 v7, v3
	s_waitcnt lgkmcnt(0)
	global_store_dword v[8:9], v4, off
	ds_read2_b32 v[8:9], v10 offset0:20 offset1:30
	v_lshl_add_u64 v[6:7], v[6:7], 2, v[0:1]
	global_store_dword v[6:7], v5, off
	v_add_u32_e32 v4, 20, v2
	v_mov_b32_e32 v5, v3
	v_lshl_add_u64 v[4:5], v[4:5], 2, v[0:1]
	ds_read2_b32 v[6:7], v10 offset0:40 offset1:50
	s_waitcnt lgkmcnt(1)
	global_store_dword v[4:5], v8, off
	v_add_u32_e32 v4, 30, v2
	v_mov_b32_e32 v5, v3
	v_lshl_add_u64 v[4:5], v[4:5], 2, v[0:1]
	global_store_dword v[4:5], v9, off
	v_add_u32_e32 v4, 40, v2
	v_mov_b32_e32 v5, v3
	v_add_u32_e32 v2, 50, v2
	v_lshl_add_u64 v[4:5], v[4:5], 2, v[0:1]
	v_lshl_add_u64 v[0:1], v[2:3], 2, v[0:1]
	s_waitcnt lgkmcnt(0)
	global_store_dword v[4:5], v6, off
	global_store_dword v[0:1], v7, off
.LBB0_22:
	s_endpgm
	.section	.rodata,"a",@progbits
	.p2align	6, 0x0
	.amdhsa_kernel fft_rtc_back_len60_factors_6_10_wgs_60_tpt_10_halfLds_half_ip_CI_unitstride_sbrr_C2R_dirReg
		.amdhsa_group_segment_fixed_size 0
		.amdhsa_private_segment_fixed_size 0
		.amdhsa_kernarg_size 88
		.amdhsa_user_sgpr_count 2
		.amdhsa_user_sgpr_dispatch_ptr 0
		.amdhsa_user_sgpr_queue_ptr 0
		.amdhsa_user_sgpr_kernarg_segment_ptr 1
		.amdhsa_user_sgpr_dispatch_id 0
		.amdhsa_user_sgpr_kernarg_preload_length 0
		.amdhsa_user_sgpr_kernarg_preload_offset 0
		.amdhsa_user_sgpr_private_segment_size 0
		.amdhsa_uses_dynamic_stack 0
		.amdhsa_enable_private_segment 0
		.amdhsa_system_sgpr_workgroup_id_x 1
		.amdhsa_system_sgpr_workgroup_id_y 0
		.amdhsa_system_sgpr_workgroup_id_z 0
		.amdhsa_system_sgpr_workgroup_info 0
		.amdhsa_system_vgpr_workitem_id 0
		.amdhsa_next_free_vgpr 54
		.amdhsa_next_free_sgpr 22
		.amdhsa_accum_offset 56
		.amdhsa_reserve_vcc 1
		.amdhsa_float_round_mode_32 0
		.amdhsa_float_round_mode_16_64 0
		.amdhsa_float_denorm_mode_32 3
		.amdhsa_float_denorm_mode_16_64 3
		.amdhsa_dx10_clamp 1
		.amdhsa_ieee_mode 1
		.amdhsa_fp16_overflow 0
		.amdhsa_tg_split 0
		.amdhsa_exception_fp_ieee_invalid_op 0
		.amdhsa_exception_fp_denorm_src 0
		.amdhsa_exception_fp_ieee_div_zero 0
		.amdhsa_exception_fp_ieee_overflow 0
		.amdhsa_exception_fp_ieee_underflow 0
		.amdhsa_exception_fp_ieee_inexact 0
		.amdhsa_exception_int_div_zero 0
	.end_amdhsa_kernel
	.text
.Lfunc_end0:
	.size	fft_rtc_back_len60_factors_6_10_wgs_60_tpt_10_halfLds_half_ip_CI_unitstride_sbrr_C2R_dirReg, .Lfunc_end0-fft_rtc_back_len60_factors_6_10_wgs_60_tpt_10_halfLds_half_ip_CI_unitstride_sbrr_C2R_dirReg
                                        ; -- End function
	.section	.AMDGPU.csdata,"",@progbits
; Kernel info:
; codeLenInByte = 4304
; NumSgprs: 28
; NumVgprs: 54
; NumAgprs: 0
; TotalNumVgprs: 54
; ScratchSize: 0
; MemoryBound: 0
; FloatMode: 240
; IeeeMode: 1
; LDSByteSize: 0 bytes/workgroup (compile time only)
; SGPRBlocks: 3
; VGPRBlocks: 6
; NumSGPRsForWavesPerEU: 28
; NumVGPRsForWavesPerEU: 54
; AccumOffset: 56
; Occupancy: 8
; WaveLimiterHint : 1
; COMPUTE_PGM_RSRC2:SCRATCH_EN: 0
; COMPUTE_PGM_RSRC2:USER_SGPR: 2
; COMPUTE_PGM_RSRC2:TRAP_HANDLER: 0
; COMPUTE_PGM_RSRC2:TGID_X_EN: 1
; COMPUTE_PGM_RSRC2:TGID_Y_EN: 0
; COMPUTE_PGM_RSRC2:TGID_Z_EN: 0
; COMPUTE_PGM_RSRC2:TIDIG_COMP_CNT: 0
; COMPUTE_PGM_RSRC3_GFX90A:ACCUM_OFFSET: 13
; COMPUTE_PGM_RSRC3_GFX90A:TG_SPLIT: 0
	.text
	.p2alignl 6, 3212836864
	.fill 256, 4, 3212836864
	.type	__hip_cuid_63281994fd06ebf9,@object ; @__hip_cuid_63281994fd06ebf9
	.section	.bss,"aw",@nobits
	.globl	__hip_cuid_63281994fd06ebf9
__hip_cuid_63281994fd06ebf9:
	.byte	0                               ; 0x0
	.size	__hip_cuid_63281994fd06ebf9, 1

	.ident	"AMD clang version 19.0.0git (https://github.com/RadeonOpenCompute/llvm-project roc-6.4.0 25133 c7fe45cf4b819c5991fe208aaa96edf142730f1d)"
	.section	".note.GNU-stack","",@progbits
	.addrsig
	.addrsig_sym __hip_cuid_63281994fd06ebf9
	.amdgpu_metadata
---
amdhsa.kernels:
  - .agpr_count:     0
    .args:
      - .actual_access:  read_only
        .address_space:  global
        .offset:         0
        .size:           8
        .value_kind:     global_buffer
      - .offset:         8
        .size:           8
        .value_kind:     by_value
      - .actual_access:  read_only
        .address_space:  global
        .offset:         16
        .size:           8
        .value_kind:     global_buffer
      - .actual_access:  read_only
        .address_space:  global
        .offset:         24
        .size:           8
        .value_kind:     global_buffer
      - .offset:         32
        .size:           8
        .value_kind:     by_value
      - .actual_access:  read_only
        .address_space:  global
        .offset:         40
        .size:           8
        .value_kind:     global_buffer
      - .actual_access:  read_only
        .address_space:  global
        .offset:         48
        .size:           8
        .value_kind:     global_buffer
      - .offset:         56
        .size:           4
        .value_kind:     by_value
      - .actual_access:  read_only
        .address_space:  global
        .offset:         64
        .size:           8
        .value_kind:     global_buffer
      - .actual_access:  read_only
        .address_space:  global
        .offset:         72
        .size:           8
        .value_kind:     global_buffer
      - .address_space:  global
        .offset:         80
        .size:           8
        .value_kind:     global_buffer
    .group_segment_fixed_size: 0
    .kernarg_segment_align: 8
    .kernarg_segment_size: 88
    .language:       OpenCL C
    .language_version:
      - 2
      - 0
    .max_flat_workgroup_size: 60
    .name:           fft_rtc_back_len60_factors_6_10_wgs_60_tpt_10_halfLds_half_ip_CI_unitstride_sbrr_C2R_dirReg
    .private_segment_fixed_size: 0
    .sgpr_count:     28
    .sgpr_spill_count: 0
    .symbol:         fft_rtc_back_len60_factors_6_10_wgs_60_tpt_10_halfLds_half_ip_CI_unitstride_sbrr_C2R_dirReg.kd
    .uniform_work_group_size: 1
    .uses_dynamic_stack: false
    .vgpr_count:     54
    .vgpr_spill_count: 0
    .wavefront_size: 64
amdhsa.target:   amdgcn-amd-amdhsa--gfx950
amdhsa.version:
  - 1
  - 2
...

	.end_amdgpu_metadata
